;; amdgpu-corpus repo=ROCm/rocFFT kind=compiled arch=gfx950 opt=O3
	.text
	.amdgcn_target "amdgcn-amd-amdhsa--gfx950"
	.amdhsa_code_object_version 6
	.protected	fft_rtc_fwd_len169_factors_13_13_wgs_156_tpt_13_dp_op_CI_CI_sbcc_dirReg_intrinsicRead ; -- Begin function fft_rtc_fwd_len169_factors_13_13_wgs_156_tpt_13_dp_op_CI_CI_sbcc_dirReg_intrinsicRead
	.globl	fft_rtc_fwd_len169_factors_13_13_wgs_156_tpt_13_dp_op_CI_CI_sbcc_dirReg_intrinsicRead
	.p2align	8
	.type	fft_rtc_fwd_len169_factors_13_13_wgs_156_tpt_13_dp_op_CI_CI_sbcc_dirReg_intrinsicRead,@function
fft_rtc_fwd_len169_factors_13_13_wgs_156_tpt_13_dp_op_CI_CI_sbcc_dirReg_intrinsicRead: ; @fft_rtc_fwd_len169_factors_13_13_wgs_156_tpt_13_dp_op_CI_CI_sbcc_dirReg_intrinsicRead
; %bb.0:
	s_load_dwordx4 s[16:19], s[0:1], 0x18
	s_load_dwordx2 s[28:29], s[0:1], 0x28
	s_mov_b32 s3, 0
	s_mov_b64 s[22:23], 0
	s_waitcnt lgkmcnt(0)
	s_load_dwordx2 s[26:27], s[16:17], 0x8
	s_waitcnt lgkmcnt(0)
	s_add_u32 s4, s26, -1
	s_addc_u32 s5, s27, -1
	s_add_u32 s6, 0, 0x55540000
	s_addc_u32 s7, 0, 0x55
	s_mul_hi_u32 s9, s6, -12
	s_add_i32 s7, s7, 0x15555500
	s_sub_i32 s9, s9, s6
	s_mul_i32 s12, s7, -12
	s_mul_i32 s8, s6, -12
	s_add_i32 s9, s9, s12
	s_mul_hi_u32 s10, s7, s8
	s_mul_i32 s11, s7, s8
	s_mul_i32 s13, s6, s9
	s_mul_hi_u32 s8, s6, s8
	s_mul_hi_u32 s12, s6, s9
	s_add_u32 s8, s8, s13
	s_addc_u32 s12, 0, s12
	s_add_u32 s8, s8, s11
	s_mul_hi_u32 s13, s7, s9
	s_addc_u32 s8, s12, s10
	s_addc_u32 s10, s13, 0
	s_mul_i32 s9, s7, s9
	s_add_u32 s8, s8, s9
	v_mov_b32_e32 v1, s8
	s_addc_u32 s9, 0, s10
	v_add_co_u32_e32 v1, vcc, s6, v1
	s_cmp_lg_u64 vcc, 0
	s_addc_u32 s6, s7, s9
	v_readfirstlane_b32 s9, v1
	s_mul_i32 s8, s4, s6
	s_mul_hi_u32 s10, s4, s9
	s_mul_hi_u32 s7, s4, s6
	s_add_u32 s8, s10, s8
	s_addc_u32 s7, 0, s7
	s_mul_hi_u32 s11, s5, s9
	s_mul_i32 s9, s5, s9
	s_add_u32 s8, s8, s9
	s_mul_hi_u32 s10, s5, s6
	s_addc_u32 s7, s7, s11
	s_addc_u32 s8, s10, 0
	s_mul_i32 s6, s5, s6
	s_add_u32 s6, s7, s6
	s_addc_u32 s7, 0, s8
	s_add_u32 s8, s6, 1
	s_addc_u32 s9, s7, 0
	s_add_u32 s10, s6, 2
	s_mul_i32 s12, s7, 12
	s_mul_hi_u32 s13, s6, 12
	s_addc_u32 s11, s7, 0
	s_add_i32 s13, s13, s12
	s_mul_i32 s12, s6, 12
	v_mov_b32_e32 v1, s12
	v_sub_co_u32_e32 v1, vcc, s4, v1
	s_cmp_lg_u64 vcc, 0
	s_subb_u32 s4, s5, s13
	v_subrev_co_u32_e32 v2, vcc, 12, v1
	s_cmp_lg_u64 vcc, 0
	s_subb_u32 s5, s4, 0
	v_readfirstlane_b32 s12, v2
	s_cmp_gt_u32 s12, 11
	s_cselect_b32 s12, -1, 0
	s_cmp_eq_u32 s5, 0
	s_cselect_b32 s5, s12, -1
	s_cmp_lg_u32 s5, 0
	s_cselect_b32 s5, s10, s8
	s_cselect_b32 s8, s11, s9
	v_readfirstlane_b32 s9, v1
	s_cmp_gt_u32 s9, 11
	s_cselect_b32 s9, -1, 0
	s_cmp_eq_u32 s4, 0
	s_cselect_b32 s4, s9, -1
	s_cmp_lg_u32 s4, 0
	s_cselect_b32 s5, s5, s6
	s_cselect_b32 s4, s8, s7
	s_add_u32 s30, s5, 1
	s_addc_u32 s31, s4, 0
	v_mov_b64_e32 v[2:3], s[30:31]
	v_cmp_lt_u64_e32 vcc, s[2:3], v[2:3]
	s_cbranch_vccnz .LBB0_2
; %bb.1:
	v_cvt_f32_u32_e32 v1, s30
	s_sub_i32 s4, 0, s30
	s_mov_b32 s23, s3
	v_rcp_iflag_f32_e32 v1, v1
	s_nop 0
	v_mul_f32_e32 v1, 0x4f7ffffe, v1
	v_cvt_u32_f32_e32 v1, v1
	s_nop 0
	v_readfirstlane_b32 s5, v1
	s_mul_i32 s4, s4, s5
	s_mul_hi_u32 s4, s5, s4
	s_add_i32 s5, s5, s4
	s_mul_hi_u32 s4, s2, s5
	s_mul_i32 s6, s4, s30
	s_sub_i32 s6, s2, s6
	s_add_i32 s5, s4, 1
	s_sub_i32 s7, s6, s30
	s_cmp_ge_u32 s6, s30
	s_cselect_b32 s4, s5, s4
	s_cselect_b32 s6, s7, s6
	s_add_i32 s5, s4, 1
	s_cmp_ge_u32 s6, s30
	s_cselect_b32 s22, s5, s4
.LBB0_2:
	s_load_dwordx4 s[8:11], s[0:1], 0x60
	s_load_dwordx4 s[12:15], s[18:19], 0x0
	;; [unrolled: 1-line block ×3, first 2 shown]
	s_load_dwordx2 s[24:25], s[0:1], 0x0
	s_load_dwordx2 s[36:37], s[0:1], 0x10
	s_mul_i32 s0, s22, s31
	s_mul_hi_u32 s1, s22, s30
	s_add_i32 s1, s1, s0
	s_mul_i32 s0, s22, s30
	s_sub_u32 s0, s2, s0
	s_subb_u32 s1, 0, s1
	s_mul_i32 s1, s1, 12
	s_waitcnt lgkmcnt(0)
	s_mul_hi_u32 s13, s0, 12
	s_add_i32 s35, s13, s1
	s_mul_i32 s34, s0, 12
	s_mul_i32 s0, s14, s35
	s_mul_hi_u32 s1, s14, s34
	s_add_i32 s0, s1, s0
	s_mul_i32 s1, s15, s34
	s_add_i32 s15, s0, s1
	s_mul_i32 s0, s6, s35
	s_mul_hi_u32 s1, s6, s34
	s_add_i32 s0, s1, s0
	s_mul_i32 s1, s7, s34
	s_add_i32 s21, s0, s1
	v_cmp_lt_u64_e64 s[0:1], s[36:37], 3
	s_mul_i32 s13, s14, s34
	s_mul_i32 s20, s6, s34
	s_and_b64 vcc, exec, s[0:1]
	s_cbranch_vccnz .LBB0_12
; %bb.3:
	s_add_u32 s38, s28, 16
	s_addc_u32 s39, s29, 0
	s_add_u32 s40, s18, 16
	s_addc_u32 s41, s19, 0
	;; [unrolled: 2-line block ×3, first 2 shown]
	s_mov_b64 s[42:43], 2
	s_mov_b32 s44, 0
	v_mov_b64_e32 v[2:3], s[36:37]
.LBB0_4:                                ; =>This Inner Loop Header: Depth=1
	s_load_dwordx2 s[46:47], s[16:17], 0x0
	s_waitcnt lgkmcnt(0)
	s_or_b64 s[0:1], s[22:23], s[46:47]
	s_mov_b32 s45, s1
	s_cmp_lg_u64 s[44:45], 0
	s_cbranch_scc0 .LBB0_9
; %bb.5:                                ;   in Loop: Header=BB0_4 Depth=1
	v_cvt_f32_u32_e32 v1, s46
	v_cvt_f32_u32_e32 v4, s47
	s_sub_u32 s0, 0, s46
	s_subb_u32 s1, 0, s47
	v_fmac_f32_e32 v1, 0x4f800000, v4
	v_rcp_f32_e32 v1, v1
	s_nop 0
	v_mul_f32_e32 v1, 0x5f7ffffc, v1
	v_mul_f32_e32 v4, 0x2f800000, v1
	v_trunc_f32_e32 v4, v4
	v_fmac_f32_e32 v1, 0xcf800000, v4
	v_cvt_u32_f32_e32 v4, v4
	v_cvt_u32_f32_e32 v1, v1
	v_readfirstlane_b32 s33, v4
	v_readfirstlane_b32 s45, v1
	s_mul_i32 s48, s0, s33
	s_mul_hi_u32 s50, s0, s45
	s_mul_i32 s49, s1, s45
	s_add_i32 s48, s50, s48
	s_mul_i32 s51, s0, s45
	s_add_i32 s48, s48, s49
	s_mul_hi_u32 s49, s45, s48
	s_mul_i32 s50, s45, s48
	s_mul_hi_u32 s45, s45, s51
	s_add_u32 s45, s45, s50
	s_addc_u32 s49, 0, s49
	s_mul_hi_u32 s52, s33, s51
	s_mul_i32 s51, s33, s51
	s_add_u32 s45, s45, s51
	s_mul_hi_u32 s50, s33, s48
	s_addc_u32 s45, s49, s52
	s_addc_u32 s49, s50, 0
	s_mul_i32 s48, s33, s48
	s_add_u32 s45, s45, s48
	s_addc_u32 s48, 0, s49
	v_add_co_u32_e32 v1, vcc, s45, v1
	s_cmp_lg_u64 vcc, 0
	s_addc_u32 s33, s33, s48
	v_readfirstlane_b32 s48, v1
	s_mul_i32 s45, s0, s33
	s_mul_hi_u32 s49, s0, s48
	s_add_i32 s45, s49, s45
	s_mul_i32 s1, s1, s48
	s_add_i32 s45, s45, s1
	s_mul_i32 s0, s0, s48
	s_mul_hi_u32 s49, s33, s0
	s_mul_i32 s50, s33, s0
	s_mul_i32 s52, s48, s45
	s_mul_hi_u32 s0, s48, s0
	s_mul_hi_u32 s51, s48, s45
	s_add_u32 s0, s0, s52
	s_addc_u32 s48, 0, s51
	s_add_u32 s0, s0, s50
	s_mul_hi_u32 s1, s33, s45
	s_addc_u32 s0, s48, s49
	s_addc_u32 s1, s1, 0
	s_mul_i32 s45, s33, s45
	s_add_u32 s0, s0, s45
	s_addc_u32 s1, 0, s1
	v_add_co_u32_e32 v1, vcc, s0, v1
	s_cmp_lg_u64 vcc, 0
	s_addc_u32 s0, s33, s1
	v_readfirstlane_b32 s45, v1
	s_mul_i32 s33, s22, s0
	s_mul_hi_u32 s48, s22, s45
	s_mul_hi_u32 s1, s22, s0
	s_add_u32 s33, s48, s33
	s_addc_u32 s1, 0, s1
	s_mul_hi_u32 s49, s23, s45
	s_mul_i32 s45, s23, s45
	s_add_u32 s33, s33, s45
	s_mul_hi_u32 s48, s23, s0
	s_addc_u32 s1, s1, s49
	s_addc_u32 s33, s48, 0
	s_mul_i32 s0, s23, s0
	s_add_u32 s45, s1, s0
	s_addc_u32 s33, 0, s33
	s_mul_i32 s0, s46, s33
	s_mul_hi_u32 s1, s46, s45
	s_add_i32 s0, s1, s0
	s_mul_i32 s1, s47, s45
	s_add_i32 s48, s0, s1
	s_mul_i32 s1, s46, s45
	v_mov_b32_e32 v1, s1
	s_sub_i32 s0, s23, s48
	v_sub_co_u32_e32 v1, vcc, s22, v1
	s_cmp_lg_u64 vcc, 0
	s_subb_u32 s49, s0, s47
	v_subrev_co_u32_e64 v4, s[0:1], s46, v1
	s_cmp_lg_u64 s[0:1], 0
	s_subb_u32 s0, s49, 0
	s_cmp_ge_u32 s0, s47
	v_readfirstlane_b32 s49, v4
	s_cselect_b32 s1, -1, 0
	s_cmp_ge_u32 s49, s46
	s_cselect_b32 s49, -1, 0
	s_cmp_eq_u32 s0, s47
	s_cselect_b32 s0, s49, s1
	s_add_u32 s1, s45, 1
	s_addc_u32 s49, s33, 0
	s_add_u32 s50, s45, 2
	s_addc_u32 s51, s33, 0
	s_cmp_lg_u32 s0, 0
	s_cselect_b32 s0, s50, s1
	s_cselect_b32 s1, s51, s49
	s_cmp_lg_u64 vcc, 0
	s_subb_u32 s48, s23, s48
	s_cmp_ge_u32 s48, s47
	v_readfirstlane_b32 s50, v1
	s_cselect_b32 s49, -1, 0
	s_cmp_ge_u32 s50, s46
	s_cselect_b32 s50, -1, 0
	s_cmp_eq_u32 s48, s47
	s_cselect_b32 s48, s50, s49
	s_cmp_lg_u32 s48, 0
	s_cselect_b32 s1, s1, s33
	s_cselect_b32 s0, s0, s45
	s_cbranch_execnz .LBB0_7
.LBB0_6:                                ;   in Loop: Header=BB0_4 Depth=1
	v_cvt_f32_u32_e32 v1, s46
	s_sub_i32 s0, 0, s46
	v_rcp_iflag_f32_e32 v1, v1
	s_nop 0
	v_mul_f32_e32 v1, 0x4f7ffffe, v1
	v_cvt_u32_f32_e32 v1, v1
	s_nop 0
	v_readfirstlane_b32 s1, v1
	s_mul_i32 s0, s0, s1
	s_mul_hi_u32 s0, s1, s0
	s_add_i32 s1, s1, s0
	s_mul_hi_u32 s0, s22, s1
	s_mul_i32 s33, s0, s46
	s_sub_i32 s33, s22, s33
	s_add_i32 s1, s0, 1
	s_sub_i32 s45, s33, s46
	s_cmp_ge_u32 s33, s46
	s_cselect_b32 s0, s1, s0
	s_cselect_b32 s33, s45, s33
	s_add_i32 s1, s0, 1
	s_cmp_ge_u32 s33, s46
	s_cselect_b32 s0, s1, s0
	s_mov_b32 s1, s44
.LBB0_7:                                ;   in Loop: Header=BB0_4 Depth=1
	s_mul_i32 s31, s46, s31
	s_mul_hi_u32 s33, s46, s30
	s_add_i32 s31, s33, s31
	s_mul_i32 s33, s47, s30
	s_add_i32 s31, s31, s33
	s_mul_i32 s33, s0, s47
	s_mul_hi_u32 s45, s0, s46
	s_load_dwordx2 s[48:49], s[40:41], 0x0
	s_add_i32 s33, s45, s33
	s_mul_i32 s45, s1, s46
	s_add_i32 s33, s33, s45
	s_mul_i32 s45, s0, s46
	s_sub_u32 s45, s22, s45
	s_subb_u32 s33, s23, s33
	s_waitcnt lgkmcnt(0)
	s_mul_i32 s22, s48, s33
	s_mul_hi_u32 s23, s48, s45
	s_mul_i32 s30, s46, s30
	s_add_i32 s46, s23, s22
	s_load_dwordx2 s[22:23], s[38:39], 0x0
	s_mul_i32 s47, s49, s45
	s_add_i32 s46, s46, s47
	s_mul_i32 s47, s48, s45
	s_add_u32 s13, s47, s13
	s_addc_u32 s15, s46, s15
	s_waitcnt lgkmcnt(0)
	s_mul_i32 s33, s22, s33
	s_mul_hi_u32 s46, s22, s45
	s_add_i32 s33, s46, s33
	s_mul_i32 s23, s23, s45
	s_add_i32 s33, s33, s23
	s_mul_i32 s22, s22, s45
	s_add_u32 s20, s22, s20
	s_addc_u32 s21, s33, s21
	s_add_u32 s42, s42, 1
	s_addc_u32 s43, s43, 0
	;; [unrolled: 2-line block ×4, first 2 shown]
	s_add_u32 s16, s16, 8
	v_cmp_ge_u64_e32 vcc, s[42:43], v[2:3]
	s_addc_u32 s17, s17, 0
	s_cbranch_vccnz .LBB0_10
; %bb.8:                                ;   in Loop: Header=BB0_4 Depth=1
	s_mov_b64 s[22:23], s[0:1]
	s_branch .LBB0_4
.LBB0_9:                                ;   in Loop: Header=BB0_4 Depth=1
                                        ; implicit-def: $sgpr0_sgpr1
	s_branch .LBB0_6
.LBB0_10:
	v_mov_b64_e32 v[2:3], s[30:31]
	v_cmp_lt_u64_e32 vcc, s[2:3], v[2:3]
	s_mov_b64 s[22:23], 0
	s_cbranch_vccnz .LBB0_12
; %bb.11:
	v_cvt_f32_u32_e32 v1, s30
	s_sub_i32 s0, 0, s30
	v_rcp_iflag_f32_e32 v1, v1
	s_nop 0
	v_mul_f32_e32 v1, 0x4f7ffffe, v1
	v_cvt_u32_f32_e32 v1, v1
	s_nop 0
	v_readfirstlane_b32 s1, v1
	s_mul_i32 s0, s0, s1
	s_mul_hi_u32 s0, s1, s0
	s_add_i32 s1, s1, s0
	s_mul_hi_u32 s0, s2, s1
	s_mul_i32 s3, s0, s30
	s_sub_i32 s2, s2, s3
	s_add_i32 s1, s0, 1
	s_sub_i32 s3, s2, s30
	s_cmp_ge_u32 s2, s30
	s_cselect_b32 s0, s1, s0
	s_cselect_b32 s2, s3, s2
	s_add_i32 s1, s0, 1
	s_cmp_ge_u32 s2, s30
	s_cselect_b32 s22, s1, s0
.LBB0_12:
	s_lshl_b64 s[0:1], s[36:37], 3
	s_add_u32 s2, s18, s0
	s_addc_u32 s3, s19, s1
	s_load_dwordx2 s[2:3], s[2:3], 0x0
	v_mul_u32_u24_e32 v1, 0x1556, v0
	v_lshrrev_b32_e32 v1, 16, v1
	v_mul_lo_u16_e32 v2, 12, v1
	v_sub_u16_e32 v58, v0, v2
	s_waitcnt lgkmcnt(0)
	s_mul_i32 s2, s2, s22
	s_add_u32 s2, s2, s13
	s_add_u32 s52, s28, s0
	s_addc_u32 s53, s29, s1
	s_mov_b32 s0, 0
	v_mov_b32_e32 v59, s0
	s_add_u32 s0, s34, 12
	s_addc_u32 s1, s35, 0
	v_mov_b64_e32 v[2:3], s[26:27]
	v_cmp_le_u64_e32 vcc, s[0:1], v[2:3]
	v_mad_u64_u32 v[6:7], s[0:1], s14, v58, 0
	v_lshl_add_u64 v[2:3], s[34:35], 0, v[58:59]
	v_cmp_gt_u64_e64 s[0:1], s[26:27], v[2:3]
	v_mov_b64_e32 v[44:45], 0
	s_or_b64 s[50:51], vcc, s[0:1]
	v_mov_b64_e32 v[4:5], v[44:45]
	v_mov_b64_e32 v[2:3], v[44:45]
	s_and_saveexec_b64 s[0:1], s[50:51]
	s_cbranch_execz .LBB0_14
; %bb.13:
	v_mul_lo_u32 v2, s12, v1
	v_add3_u32 v2, s2, v6, v2
	v_mov_b32_e32 v3, 0
	v_lshl_add_u64 v[2:3], v[2:3], 4, s[8:9]
	global_load_dwordx4 v[2:5], v[2:3], off
.LBB0_14:
	s_or_b64 exec, exec, s[0:1]
	v_mov_b64_e32 v[42:43], v[44:45]
	s_and_saveexec_b64 s[0:1], s[50:51]
	s_cbranch_execz .LBB0_16
; %bb.15:
	v_add_u32_e32 v7, 13, v1
	v_mul_lo_u32 v7, s12, v7
	v_add3_u32 v8, s2, v6, v7
	v_mov_b32_e32 v9, 0
	v_lshl_add_u64 v[8:9], v[8:9], 4, s[8:9]
	global_load_dwordx4 v[42:45], v[8:9], off
.LBB0_16:
	s_or_b64 exec, exec, s[0:1]
	v_mov_b64_e32 v[28:29], 0
	v_mov_b64_e32 v[36:37], v[28:29]
	v_mov_b64_e32 v[34:35], v[28:29]
	s_and_saveexec_b64 s[0:1], s[50:51]
	s_cbranch_execz .LBB0_18
; %bb.17:
	v_add_u32_e32 v7, 26, v1
	v_mul_lo_u32 v7, s12, v7
	v_add3_u32 v8, s2, v6, v7
	v_mov_b32_e32 v9, 0
	v_lshl_add_u64 v[8:9], v[8:9], 4, s[8:9]
	global_load_dwordx4 v[34:37], v[8:9], off
.LBB0_18:
	s_or_b64 exec, exec, s[0:1]
	v_mov_b64_e32 v[26:27], v[28:29]
	s_and_saveexec_b64 s[0:1], s[50:51]
	s_cbranch_execz .LBB0_20
; %bb.19:
	v_add_u32_e32 v7, 39, v1
	v_mul_lo_u32 v7, s12, v7
	v_add3_u32 v8, s2, v6, v7
	v_mov_b32_e32 v9, 0
	v_lshl_add_u64 v[8:9], v[8:9], 4, s[8:9]
	global_load_dwordx4 v[26:29], v[8:9], off
.LBB0_20:
	s_or_b64 exec, exec, s[0:1]
	v_mov_b64_e32 v[20:21], 0
	v_mov_b64_e32 v[24:25], v[20:21]
	v_mov_b64_e32 v[22:23], v[20:21]
	s_and_saveexec_b64 s[0:1], s[50:51]
	s_cbranch_execz .LBB0_22
; %bb.21:
	v_add_u32_e32 v7, 52, v1
	v_mul_lo_u32 v7, s12, v7
	v_add3_u32 v8, s2, v6, v7
	v_mov_b32_e32 v9, 0
	v_lshl_add_u64 v[8:9], v[8:9], 4, s[8:9]
	global_load_dwordx4 v[22:25], v[8:9], off
.LBB0_22:
	s_or_b64 exec, exec, s[0:1]
	v_mov_b64_e32 v[18:19], v[20:21]
	s_and_saveexec_b64 s[0:1], s[50:51]
	s_cbranch_execz .LBB0_24
; %bb.23:
	v_add_u32_e32 v7, 0x41, v1
	v_mul_lo_u32 v7, s12, v7
	v_add3_u32 v8, s2, v6, v7
	v_mov_b32_e32 v9, 0
	v_lshl_add_u64 v[8:9], v[8:9], 4, s[8:9]
	global_load_dwordx4 v[18:21], v[8:9], off
.LBB0_24:
	s_or_b64 exec, exec, s[0:1]
	v_mov_b64_e32 v[12:13], 0
	v_mov_b64_e32 v[16:17], v[12:13]
	v_mov_b64_e32 v[14:15], v[12:13]
	s_and_saveexec_b64 s[0:1], s[50:51]
	s_cbranch_execz .LBB0_26
; %bb.25:
	v_add_u32_e32 v7, 0x4e, v1
	v_mul_lo_u32 v7, s12, v7
	v_add3_u32 v8, s2, v6, v7
	v_mov_b32_e32 v9, 0
	v_lshl_add_u64 v[8:9], v[8:9], 4, s[8:9]
	global_load_dwordx4 v[14:17], v[8:9], off
.LBB0_26:
	s_or_b64 exec, exec, s[0:1]
	v_mov_b64_e32 v[10:11], v[12:13]
	s_and_saveexec_b64 s[0:1], s[50:51]
	s_cbranch_execz .LBB0_28
; %bb.27:
	v_add_u32_e32 v7, 0x5b, v1
	v_mul_lo_u32 v7, s12, v7
	v_add3_u32 v8, s2, v6, v7
	v_mov_b32_e32 v9, 0
	v_lshl_add_u64 v[8:9], v[8:9], 4, s[8:9]
	global_load_dwordx4 v[10:13], v[8:9], off
.LBB0_28:
	s_or_b64 exec, exec, s[0:1]
	v_mov_b64_e32 v[40:41], 0
	v_mov_b64_e32 v[32:33], v[40:41]
	v_mov_b64_e32 v[30:31], v[40:41]
	s_and_saveexec_b64 s[0:1], s[50:51]
	s_cbranch_execz .LBB0_30
; %bb.29:
	v_add_u32_e32 v7, 0x68, v1
	v_mul_lo_u32 v7, s12, v7
	v_add3_u32 v8, s2, v6, v7
	v_mov_b32_e32 v9, 0
	v_lshl_add_u64 v[8:9], v[8:9], 4, s[8:9]
	global_load_dwordx4 v[30:33], v[8:9], off
.LBB0_30:
	s_or_b64 exec, exec, s[0:1]
	v_mov_b64_e32 v[38:39], v[40:41]
	s_and_saveexec_b64 s[0:1], s[50:51]
	s_cbranch_execz .LBB0_32
; %bb.31:
	v_add_u32_e32 v7, 0x75, v1
	v_mul_lo_u32 v7, s12, v7
	v_add3_u32 v8, s2, v6, v7
	v_mov_b32_e32 v9, 0
	v_lshl_add_u64 v[8:9], v[8:9], 4, s[8:9]
	global_load_dwordx4 v[38:41], v[8:9], off
.LBB0_32:
	s_or_b64 exec, exec, s[0:1]
	v_mov_b64_e32 v[52:53], 0
	v_mov_b64_e32 v[48:49], v[52:53]
	v_mov_b64_e32 v[46:47], v[52:53]
	s_and_saveexec_b64 s[0:1], s[50:51]
	s_cbranch_execz .LBB0_34
; %bb.33:
	v_add_u32_e32 v7, 0x82, v1
	v_mul_lo_u32 v7, s12, v7
	v_add3_u32 v8, s2, v6, v7
	v_mov_b32_e32 v9, 0
	v_lshl_add_u64 v[8:9], v[8:9], 4, s[8:9]
	global_load_dwordx4 v[46:49], v[8:9], off
.LBB0_34:
	s_or_b64 exec, exec, s[0:1]
	v_mov_b64_e32 v[50:51], v[52:53]
	s_and_saveexec_b64 s[0:1], s[50:51]
	s_cbranch_execz .LBB0_36
; %bb.35:
	v_add_u32_e32 v7, 0x8f, v1
	v_mul_lo_u32 v7, s12, v7
	v_add3_u32 v8, s2, v6, v7
	v_mov_b32_e32 v9, 0
	v_lshl_add_u64 v[8:9], v[8:9], 4, s[8:9]
	global_load_dwordx4 v[50:53], v[8:9], off
.LBB0_36:
	s_or_b64 exec, exec, s[0:1]
	v_mov_b64_e32 v[56:57], 0
	v_mov_b64_e32 v[54:55], v[56:57]
	s_and_saveexec_b64 s[0:1], s[50:51]
	s_cbranch_execz .LBB0_38
; %bb.37:
	v_add_u32_e32 v7, 0x9c, v1
	v_mul_lo_u32 v7, s12, v7
	v_add3_u32 v6, s2, v6, v7
	v_mov_b32_e32 v7, 0
	v_lshl_add_u64 v[6:7], v[6:7], 4, s[8:9]
	global_load_dwordx4 v[54:57], v[6:7], off
.LBB0_38:
	s_or_b64 exec, exec, s[0:1]
	s_waitcnt vmcnt(0)
	v_add_f64 v[6:7], v[2:3], v[42:43]
	v_add_f64 v[8:9], v[4:5], v[44:45]
	;; [unrolled: 1-line block ×20, first 2 shown]
	s_mov_b32 s0, 0xe00740e9
	s_mov_b32 s2, 0x1ea71119
	;; [unrolled: 1-line block ×6, first 2 shown]
	v_add_f64 v[6:7], v[6:7], v[50:51]
	v_add_f64 v[8:9], v[8:9], v[52:53]
	;; [unrolled: 1-line block ×3, first 2 shown]
	s_mov_b32 s1, 0x3fec55a7
	s_mov_b32 s40, 0x4267c47c
	s_mov_b32 s3, 0x3fe22d96
	s_mov_b32 s42, 0x42a4c3d2
	s_mov_b32 s9, 0x3fbedb7d
	s_mov_b32 s44, 0x66966769
	s_mov_b32 s15, 0xbfd6b1d8
	s_mov_b32 s46, 0x2ef20147
	s_mov_b32 s19, 0xbfe7f3cc
	s_mov_b32 s48, 0x24c2f84
	s_mov_b32 s29, 0xbfef11f4
	s_mov_b32 s38, 0x4bc48dbf
	v_add_f64 v[6:7], v[6:7], v[54:55]
	v_add_f64 v[8:9], v[8:9], v[56:57]
	;; [unrolled: 1-line block ×3, first 2 shown]
	v_add_f64 v[62:63], v[42:43], -v[54:55]
	v_add_f64 v[56:57], v[44:45], -v[56:57]
	v_add_f64 v[54:55], v[34:35], v[50:51]
	v_add_f64 v[42:43], v[36:37], v[52:53]
	v_add_f64 v[44:45], v[34:35], -v[50:51]
	v_add_f64 v[34:35], v[36:37], -v[52:53]
	v_add_f64 v[50:51], v[26:27], v[46:47]
	v_add_f64 v[36:37], v[28:29], v[48:49]
	;; [unrolled: 4-line block ×3, first 2 shown]
	v_add_f64 v[38:39], v[22:23], -v[38:39]
	v_add_f64 v[22:23], v[24:25], -v[40:41]
	v_add_f64 v[52:53], v[18:19], v[30:31]
	v_add_f64 v[40:41], v[18:19], -v[30:31]
	v_add_f64 v[70:71], v[14:15], v[10:11]
	v_add_f64 v[68:69], v[14:15], -v[10:11]
	s_mov_b32 s41, 0x3fddbe06
	s_mov_b32 s13, 0xbfddbe06
	s_mov_b32 s12, s40
	v_mul_f64 v[10:11], v[64:65], s[0:1]
	s_mov_b32 s43, 0x3fea55e2
	s_mov_b32 s17, 0xbfea55e2
	s_mov_b32 s16, s42
	v_mul_f64 v[14:15], v[64:65], s[2:3]
	;; [unrolled: 4-line block ×5, first 2 shown]
	v_mul_f64 v[80:81], v[64:65], s[28:29]
	s_mov_b32 s39, 0x3fcea1e5
	s_mov_b32 s37, 0xbfcea1e5
	;; [unrolled: 1-line block ×3, first 2 shown]
	v_add_f64 v[24:25], v[20:21], v[32:33]
	v_add_f64 v[30:31], v[20:21], -v[32:33]
	v_add_f64 v[32:33], v[16:17], v[12:13]
	v_add_f64 v[66:67], v[16:17], -v[12:13]
	v_fma_f64 v[12:13], s[40:41], v[56:57], v[10:11]
	v_fmac_f64_e32 v[10:11], s[12:13], v[56:57]
	v_fma_f64 v[16:17], s[42:43], v[56:57], v[14:15]
	v_fmac_f64_e32 v[14:15], s[16:17], v[56:57]
	;; [unrolled: 2-line block ×6, first 2 shown]
	v_mul_f64 v[56:57], v[62:63], s[12:13]
	v_mul_f64 v[84:85], v[62:63], s[16:17]
	;; [unrolled: 1-line block ×6, first 2 shown]
	v_fma_f64 v[82:83], s[0:1], v[60:61], v[56:57]
	v_fma_f64 v[56:57], v[60:61], s[0:1], -v[56:57]
	v_fma_f64 v[86:87], s[2:3], v[60:61], v[84:85]
	v_fma_f64 v[84:85], v[60:61], s[2:3], -v[84:85]
	;; [unrolled: 2-line block ×6, first 2 shown]
	v_add_f64 v[12:13], v[2:3], v[12:13]
	v_add_f64 v[104:105], v[2:3], v[10:11]
	;; [unrolled: 1-line block ×12, first 2 shown]
	v_mul_f64 v[2:3], v[54:55], s[2:3]
	v_add_f64 v[82:83], v[4:5], v[82:83]
	v_add_f64 v[106:107], v[4:5], v[56:57]
	;; [unrolled: 1-line block ×12, first 2 shown]
	v_fma_f64 v[4:5], s[42:43], v[34:35], v[2:3]
	v_mul_f64 v[18:19], v[44:45], s[16:17]
	v_mul_f64 v[20:21], v[50:51], s[8:9]
	v_add_f64 v[4:5], v[4:5], v[12:13]
	v_fma_f64 v[10:11], s[2:3], v[42:43], v[18:19]
	v_fma_f64 v[12:13], s[44:45], v[26:27], v[20:21]
	v_mul_f64 v[76:77], v[46:47], s[26:27]
	v_add_f64 v[10:11], v[10:11], v[82:83]
	v_add_f64 v[4:5], v[12:13], v[4:5]
	v_fma_f64 v[12:13], s[8:9], v[36:37], v[76:77]
	v_mul_f64 v[78:79], v[48:49], s[14:15]
	v_add_f64 v[10:11], v[12:13], v[10:11]
	v_fma_f64 v[12:13], s[46:47], v[22:23], v[78:79]
	v_mul_f64 v[80:81], v[38:39], s[30:31]
	;; [unrolled: 3-line block ×3, first 2 shown]
	v_fmac_f64_e32 v[2:3], s[16:17], v[34:35]
	v_add_f64 v[10:11], v[12:13], v[10:11]
	v_fma_f64 v[12:13], s[48:49], v[30:31], v[82:83]
	v_mul_f64 v[96:97], v[40:41], s[34:35]
	v_add_f64 v[2:3], v[2:3], v[104:105]
	v_fma_f64 v[18:19], v[42:43], s[2:3], -v[18:19]
	v_fmac_f64_e32 v[20:21], s[26:27], v[26:27]
	v_add_f64 v[4:5], v[12:13], v[4:5]
	v_fma_f64 v[12:13], s[18:19], v[24:25], v[96:97]
	v_mul_f64 v[100:101], v[70:71], s[28:29]
	v_add_f64 v[18:19], v[18:19], v[106:107]
	v_add_f64 v[2:3], v[20:21], v[2:3]
	v_fma_f64 v[20:21], v[36:37], s[8:9], -v[76:77]
	v_add_f64 v[12:13], v[12:13], v[10:11]
	v_fma_f64 v[10:11], s[38:39], v[66:67], v[100:101]
	v_add_f64 v[18:19], v[20:21], v[18:19]
	v_fma_f64 v[20:21], v[28:29], s[14:15], -v[80:81]
	v_add_f64 v[10:11], v[10:11], v[4:5]
	v_mul_f64 v[4:5], v[68:69], s[36:37]
	v_add_f64 v[18:19], v[20:21], v[18:19]
	v_fma_f64 v[20:21], v[24:25], s[18:19], -v[96:97]
	v_fma_f64 v[102:103], s[28:29], v[32:33], v[4:5]
	v_fmac_f64_e32 v[78:79], s[30:31], v[22:23]
	v_add_f64 v[18:19], v[20:21], v[18:19]
	v_fma_f64 v[4:5], v[32:33], s[28:29], -v[4:5]
	v_mul_f64 v[76:77], v[54:55], s[14:15]
	v_add_f64 v[2:3], v[78:79], v[2:3]
	v_fmac_f64_e32 v[82:83], s[34:35], v[30:31]
	v_add_f64 v[4:5], v[4:5], v[18:19]
	v_fma_f64 v[18:19], s[46:47], v[34:35], v[76:77]
	v_mul_f64 v[78:79], v[44:45], s[30:31]
	v_mul_f64 v[80:81], v[50:51], s[28:29]
	v_add_f64 v[2:3], v[82:83], v[2:3]
	v_add_f64 v[16:17], v[18:19], v[16:17]
	v_fma_f64 v[18:19], s[14:15], v[42:43], v[78:79]
	v_fma_f64 v[20:21], s[38:39], v[26:27], v[80:81]
	v_mul_f64 v[82:83], v[46:47], s[36:37]
	v_add_f64 v[18:19], v[18:19], v[86:87]
	v_add_f64 v[16:17], v[20:21], v[16:17]
	v_fma_f64 v[20:21], s[28:29], v[36:37], v[82:83]
	v_mul_f64 v[86:87], v[48:49], s[18:19]
	v_fmac_f64_e32 v[100:101], s[36:37], v[66:67]
	v_add_f64 v[18:19], v[20:21], v[18:19]
	v_fma_f64 v[20:21], s[34:35], v[22:23], v[86:87]
	v_mul_f64 v[96:97], v[38:39], s[48:49]
	v_add_f64 v[2:3], v[100:101], v[2:3]
	v_add_f64 v[16:17], v[20:21], v[16:17]
	v_fma_f64 v[20:21], s[18:19], v[28:29], v[96:97]
	v_mul_f64 v[100:101], v[52:53], s[8:9]
	v_fmac_f64_e32 v[76:77], s[30:31], v[34:35]
	v_add_f64 v[12:13], v[102:103], v[12:13]
	v_add_f64 v[18:19], v[20:21], v[18:19]
	v_fma_f64 v[20:21], s[26:27], v[30:31], v[100:101]
	v_mul_f64 v[102:103], v[40:41], s[44:45]
	v_add_f64 v[14:15], v[76:77], v[14:15]
	v_fma_f64 v[76:77], v[42:43], s[14:15], -v[78:79]
	v_add_f64 v[16:17], v[20:21], v[16:17]
	v_fma_f64 v[20:21], s[8:9], v[24:25], v[102:103]
	v_mul_f64 v[104:105], v[70:71], s[0:1]
	v_add_f64 v[76:77], v[76:77], v[84:85]
	v_fma_f64 v[78:79], v[36:37], s[28:29], -v[82:83]
	v_add_f64 v[20:21], v[20:21], v[18:19]
	v_fma_f64 v[18:19], s[12:13], v[66:67], v[104:105]
	v_add_f64 v[76:77], v[78:79], v[76:77]
	v_fma_f64 v[78:79], v[28:29], s[18:19], -v[96:97]
	v_add_f64 v[18:19], v[18:19], v[16:17]
	v_mul_f64 v[16:17], v[68:69], s[40:41]
	v_fmac_f64_e32 v[80:81], s[36:37], v[26:27]
	v_add_f64 v[76:77], v[78:79], v[76:77]
	v_fma_f64 v[78:79], v[24:25], s[8:9], -v[102:103]
	v_fma_f64 v[106:107], s[0:1], v[32:33], v[16:17]
	v_add_f64 v[14:15], v[80:81], v[14:15]
	v_add_f64 v[76:77], v[78:79], v[76:77]
	v_fma_f64 v[16:17], v[32:33], s[0:1], -v[16:17]
	v_mul_f64 v[80:81], v[54:55], s[28:29]
	v_fmac_f64_e32 v[86:87], s[48:49], v[22:23]
	v_add_f64 v[16:17], v[16:17], v[76:77]
	v_fma_f64 v[76:77], s[38:39], v[34:35], v[80:81]
	v_mul_f64 v[84:85], v[50:51], s[14:15]
	v_add_f64 v[14:15], v[86:87], v[14:15]
	v_add_f64 v[76:77], v[76:77], v[108:109]
	v_mul_f64 v[82:83], v[44:45], s[36:37]
	v_fma_f64 v[86:87], s[30:31], v[26:27], v[84:85]
	v_fma_f64 v[78:79], s[28:29], v[42:43], v[82:83]
	v_add_f64 v[76:77], v[86:87], v[76:77]
	v_mul_f64 v[86:87], v[46:47], s[46:47]
	v_add_f64 v[78:79], v[78:79], v[90:91]
	v_fma_f64 v[90:91], s[14:15], v[36:37], v[86:87]
	v_add_f64 v[78:79], v[90:91], v[78:79]
	v_mul_f64 v[90:91], v[48:49], s[0:1]
	v_fma_f64 v[96:97], s[12:13], v[22:23], v[90:91]
	v_fmac_f64_e32 v[100:101], s[44:45], v[30:31]
	v_add_f64 v[76:77], v[96:97], v[76:77]
	v_mul_f64 v[96:97], v[38:39], s[40:41]
	v_add_f64 v[14:15], v[100:101], v[14:15]
	v_fma_f64 v[100:101], s[0:1], v[28:29], v[96:97]
	v_add_f64 v[78:79], v[100:101], v[78:79]
	v_mul_f64 v[100:101], v[52:53], s[2:3]
	v_fma_f64 v[102:103], s[42:43], v[30:31], v[100:101]
	v_fmac_f64_e32 v[104:105], s[40:41], v[66:67]
	v_add_f64 v[76:77], v[102:103], v[76:77]
	v_mul_f64 v[102:103], v[40:41], s[16:17]
	v_fmac_f64_e32 v[80:81], s[36:37], v[34:35]
	v_add_f64 v[14:15], v[104:105], v[14:15]
	v_fma_f64 v[104:105], s[2:3], v[24:25], v[102:103]
	v_add_f64 v[80:81], v[80:81], v[110:111]
	v_fma_f64 v[82:83], v[42:43], s[28:29], -v[82:83]
	v_fmac_f64_e32 v[84:85], s[46:47], v[26:27]
	v_add_f64 v[78:79], v[104:105], v[78:79]
	v_mul_f64 v[104:105], v[70:71], s[18:19]
	v_add_f64 v[82:83], v[82:83], v[88:89]
	v_add_f64 v[80:81], v[84:85], v[80:81]
	v_fma_f64 v[84:85], v[36:37], s[14:15], -v[86:87]
	v_add_f64 v[20:21], v[106:107], v[20:21]
	v_fma_f64 v[106:107], s[48:49], v[66:67], v[104:105]
	v_add_f64 v[82:83], v[84:85], v[82:83]
	v_fmac_f64_e32 v[90:91], s[40:41], v[22:23]
	v_fma_f64 v[84:85], v[28:29], s[0:1], -v[96:97]
	v_add_f64 v[76:77], v[106:107], v[76:77]
	v_mul_f64 v[106:107], v[68:69], s[34:35]
	v_add_f64 v[80:81], v[90:91], v[80:81]
	v_add_f64 v[82:83], v[84:85], v[82:83]
	v_fma_f64 v[84:85], v[24:25], s[2:3], -v[102:103]
	v_mul_f64 v[90:91], v[44:45], s[48:49]
	v_add_f64 v[82:83], v[84:85], v[82:83]
	v_fma_f64 v[84:85], v[32:33], s[18:19], -v[106:107]
	v_mul_f64 v[88:89], v[54:55], s[18:19]
	v_fma_f64 v[86:87], s[18:19], v[42:43], v[90:91]
	v_add_f64 v[82:83], v[84:85], v[82:83]
	v_fma_f64 v[84:85], s[34:35], v[34:35], v[88:89]
	v_add_f64 v[86:87], v[86:87], v[94:95]
	v_mul_f64 v[94:95], v[50:51], s[0:1]
	v_add_f64 v[84:85], v[84:85], v[112:113]
	v_fma_f64 v[96:97], s[12:13], v[26:27], v[94:95]
	v_fmac_f64_e32 v[100:101], s[16:17], v[30:31]
	v_add_f64 v[84:85], v[96:97], v[84:85]
	v_mul_f64 v[96:97], v[46:47], s[40:41]
	v_add_f64 v[80:81], v[100:101], v[80:81]
	v_fma_f64 v[100:101], s[0:1], v[36:37], v[96:97]
	v_add_f64 v[86:87], v[100:101], v[86:87]
	v_mul_f64 v[100:101], v[48:49], s[8:9]
	v_fma_f64 v[102:103], s[44:45], v[22:23], v[100:101]
	v_fmac_f64_e32 v[104:105], s[34:35], v[66:67]
	v_add_f64 v[84:85], v[102:103], v[84:85]
	v_mul_f64 v[102:103], v[38:39], s[26:27]
	v_add_f64 v[80:81], v[104:105], v[80:81]
	v_fma_f64 v[104:105], s[8:9], v[28:29], v[102:103]
	v_add_f64 v[86:87], v[104:105], v[86:87]
	v_mul_f64 v[104:105], v[52:53], s[28:29]
	v_fma_f64 v[108:109], s[18:19], v[32:33], v[106:107]
	v_fma_f64 v[106:107], s[36:37], v[30:31], v[104:105]
	v_add_f64 v[84:85], v[106:107], v[84:85]
	v_mul_f64 v[106:107], v[40:41], s[38:39]
	v_add_f64 v[78:79], v[108:109], v[78:79]
	v_fma_f64 v[108:109], s[28:29], v[24:25], v[106:107]
	v_fmac_f64_e32 v[88:89], s[48:49], v[34:35]
	v_fma_f64 v[90:91], v[42:43], s[18:19], -v[90:91]
	v_add_f64 v[86:87], v[108:109], v[86:87]
	v_mul_f64 v[108:109], v[70:71], s[2:3]
	v_add_f64 v[88:89], v[88:89], v[114:115]
	v_add_f64 v[90:91], v[90:91], v[92:93]
	v_fmac_f64_e32 v[94:95], s[40:41], v[26:27]
	v_fma_f64 v[92:93], v[36:37], s[0:1], -v[96:97]
	v_fma_f64 v[110:111], s[16:17], v[66:67], v[108:109]
	v_add_f64 v[88:89], v[94:95], v[88:89]
	v_add_f64 v[90:91], v[92:93], v[90:91]
	v_fmac_f64_e32 v[100:101], s[26:27], v[22:23]
	v_fma_f64 v[92:93], v[28:29], s[8:9], -v[102:103]
	v_add_f64 v[84:85], v[110:111], v[84:85]
	v_mul_f64 v[110:111], v[68:69], s[42:43]
	v_add_f64 v[88:89], v[100:101], v[88:89]
	v_add_f64 v[90:91], v[92:93], v[90:91]
	v_fma_f64 v[92:93], v[24:25], s[28:29], -v[106:107]
	v_mul_f64 v[100:101], v[44:45], s[44:45]
	v_add_f64 v[90:91], v[92:93], v[90:91]
	v_fma_f64 v[92:93], v[32:33], s[2:3], -v[110:111]
	v_mul_f64 v[96:97], v[54:55], s[8:9]
	v_fma_f64 v[94:95], s[8:9], v[42:43], v[100:101]
	v_add_f64 v[90:91], v[92:93], v[90:91]
	v_fma_f64 v[92:93], s[26:27], v[34:35], v[96:97]
	v_add_f64 v[94:95], v[94:95], v[98:99]
	v_mul_f64 v[98:99], v[50:51], s[2:3]
	v_add_f64 v[92:93], v[92:93], v[116:117]
	v_fma_f64 v[102:103], s[42:43], v[26:27], v[98:99]
	v_fmac_f64_e32 v[104:105], s[38:39], v[30:31]
	v_add_f64 v[92:93], v[102:103], v[92:93]
	v_mul_f64 v[102:103], v[46:47], s[16:17]
	v_add_f64 v[88:89], v[104:105], v[88:89]
	v_fma_f64 v[104:105], s[2:3], v[36:37], v[102:103]
	v_add_f64 v[94:95], v[104:105], v[94:95]
	v_mul_f64 v[104:105], v[48:49], s[28:29]
	v_fma_f64 v[106:107], s[36:37], v[22:23], v[104:105]
	v_fmac_f64_e32 v[108:109], s[42:43], v[66:67]
	v_add_f64 v[92:93], v[106:107], v[92:93]
	v_mul_f64 v[106:107], v[38:39], s[38:39]
	v_add_f64 v[88:89], v[108:109], v[88:89]
	v_fma_f64 v[108:109], s[28:29], v[28:29], v[106:107]
	v_add_f64 v[94:95], v[108:109], v[94:95]
	v_mul_f64 v[108:109], v[52:53], s[0:1]
	v_fma_f64 v[112:113], s[2:3], v[32:33], v[110:111]
	v_fma_f64 v[110:111], s[12:13], v[30:31], v[108:109]
	v_add_f64 v[92:93], v[110:111], v[92:93]
	v_mul_f64 v[110:111], v[40:41], s[40:41]
	v_fmac_f64_e32 v[96:97], s[44:45], v[34:35]
	v_add_f64 v[86:87], v[112:113], v[86:87]
	v_fma_f64 v[112:113], s[0:1], v[24:25], v[110:111]
	v_add_f64 v[74:75], v[96:97], v[74:75]
	v_fma_f64 v[96:97], v[42:43], s[8:9], -v[100:101]
	v_fmac_f64_e32 v[98:99], s[16:17], v[26:27]
	v_add_f64 v[94:95], v[112:113], v[94:95]
	v_mul_f64 v[112:113], v[70:71], s[14:15]
	v_add_f64 v[72:73], v[96:97], v[72:73]
	v_add_f64 v[74:75], v[98:99], v[74:75]
	v_fma_f64 v[96:97], v[36:37], s[2:3], -v[102:103]
	v_fmac_f64_e32 v[104:105], s[38:39], v[22:23]
	v_fma_f64 v[114:115], s[46:47], v[66:67], v[112:113]
	v_add_f64 v[72:73], v[96:97], v[72:73]
	v_add_f64 v[74:75], v[104:105], v[74:75]
	v_fma_f64 v[96:97], v[28:29], s[28:29], -v[106:107]
	v_fmac_f64_e32 v[108:109], s[40:41], v[30:31]
	v_add_f64 v[92:93], v[114:115], v[92:93]
	v_mul_f64 v[114:115], v[68:69], s[30:31]
	v_add_f64 v[72:73], v[96:97], v[72:73]
	v_add_f64 v[74:75], v[108:109], v[74:75]
	v_fma_f64 v[96:97], v[24:25], s[0:1], -v[110:111]
	v_fmac_f64_e32 v[112:113], s[30:31], v[66:67]
	v_add_f64 v[96:97], v[96:97], v[72:73]
	v_add_f64 v[72:73], v[112:113], v[74:75]
	v_fma_f64 v[74:75], v[32:33], s[14:15], -v[114:115]
	v_mul_f64 v[54:55], v[54:55], s[0:1]
	v_add_f64 v[74:75], v[74:75], v[96:97]
	v_fma_f64 v[96:97], s[12:13], v[34:35], v[54:55]
	v_mul_f64 v[44:45], v[44:45], s[40:41]
	v_add_f64 v[64:65], v[96:97], v[64:65]
	v_fma_f64 v[96:97], s[0:1], v[42:43], v[44:45]
	;; [unrolled: 3-line block ×5, first 2 shown]
	v_add_f64 v[64:65], v[96:97], v[64:65]
	v_mul_f64 v[96:97], v[38:39], s[42:43]
	v_fma_f64 v[38:39], s[2:3], v[28:29], v[96:97]
	v_mul_f64 v[52:53], v[52:53], s[14:15]
	v_fmac_f64_e32 v[54:55], s[40:41], v[34:35]
	v_add_f64 v[38:39], v[38:39], v[62:63]
	v_fma_f64 v[62:63], s[46:47], v[30:31], v[52:53]
	v_add_f64 v[34:35], v[54:55], v[60:61]
	v_fma_f64 v[42:43], v[42:43], s[0:1], -v[44:45]
	v_fmac_f64_e32 v[50:51], s[34:35], v[26:27]
	v_add_f64 v[62:63], v[62:63], v[64:65]
	v_mul_f64 v[64:65], v[40:41], s[30:31]
	v_add_f64 v[42:43], v[42:43], v[56:57]
	v_add_f64 v[26:27], v[50:51], v[34:35]
	v_fma_f64 v[34:35], v[36:37], s[18:19], -v[46:47]
	v_fmac_f64_e32 v[48:49], s[42:43], v[22:23]
	s_load_dwordx2 s[52:53], s[52:53], 0x0
	v_fma_f64 v[40:41], s[14:15], v[24:25], v[64:65]
	v_mul_f64 v[70:71], v[70:71], s[8:9]
	v_add_f64 v[34:35], v[34:35], v[42:43]
	v_add_f64 v[22:23], v[48:49], v[26:27]
	v_fma_f64 v[26:27], v[28:29], s[2:3], -v[96:97]
	v_fmac_f64_e32 v[52:53], s[30:31], v[30:31]
	v_add_f64 v[40:41], v[40:41], v[38:39]
	v_fma_f64 v[38:39], s[26:27], v[66:67], v[70:71]
	v_add_f64 v[26:27], v[26:27], v[34:35]
	v_add_f64 v[22:23], v[52:53], v[22:23]
	v_fma_f64 v[24:25], v[24:25], s[14:15], -v[64:65]
	v_fmac_f64_e32 v[70:71], s[44:45], v[66:67]
	s_movk_i32 s23, 0x9c0
	v_add_f64 v[38:39], v[38:39], v[62:63]
	v_mul_f64 v[62:63], v[68:69], s[44:45]
	v_add_f64 v[26:27], v[24:25], v[26:27]
	v_add_f64 v[24:25], v[70:71], v[22:23]
	v_mad_u32_u24 v22, v1, s23, 0
	v_fma_f64 v[116:117], s[14:15], v[32:33], v[114:115]
	v_fma_f64 v[68:69], s[8:9], v[32:33], v[62:63]
	v_fma_f64 v[28:29], v[32:33], s[8:9], -v[62:63]
	v_lshl_add_u32 v23, v58, 4, v22
	v_add_f64 v[94:95], v[116:117], v[94:95]
	v_add_f64 v[40:41], v[68:69], v[40:41]
	;; [unrolled: 1-line block ×3, first 2 shown]
	ds_write_b128 v23, v[6:9]
	ds_write_b128 v23, v[10:13] offset:192
	ds_write_b128 v23, v[18:21] offset:384
	ds_write_b128 v23, v[76:79] offset:576
	ds_write_b128 v23, v[84:87] offset:768
	ds_write_b128 v23, v[92:95] offset:960
	ds_write_b128 v23, v[38:41] offset:1152
	ds_write_b128 v23, v[24:27] offset:1344
	ds_write_b128 v23, v[72:75] offset:1536
	ds_write_b128 v23, v[88:91] offset:1728
	ds_write_b128 v23, v[80:83] offset:1920
	ds_write_b128 v23, v[14:17] offset:2112
	ds_write_b128 v23, v[2:5] offset:2304
	s_waitcnt lgkmcnt(0)
	s_barrier
	s_and_saveexec_b64 s[54:55], s[50:51]
	s_cbranch_execz .LBB0_40
; %bb.39:
	v_mul_lo_u16_e32 v2, 20, v1
	v_mov_b32_e32 v3, 13
	v_mul_lo_u16_sdwa v2, v2, v3 dst_sel:DWORD dst_unused:UNUSED_PAD src0_sel:BYTE_1 src1_sel:DWORD
	v_sub_u16_e32 v59, v1, v2
	v_mov_b32_e32 v2, 12
	v_mul_u32_u24_sdwa v2, v59, v2 dst_sel:DWORD dst_unused:UNUSED_PAD src0_sel:BYTE_0 src1_sel:DWORD
	v_lshlrev_b32_e32 v2, 4, v2
	global_load_dwordx4 v[10:13], v2, s[24:25] offset:80
	global_load_dwordx4 v[6:9], v2, s[24:25] offset:96
	;; [unrolled: 1-line block ×10, first 2 shown]
	global_load_dwordx4 v[100:103], v2, s[24:25]
	global_load_dwordx4 v[108:111], v2, s[24:25] offset:176
	v_mul_i32_i24_e32 v1, 0xfffff700, v1
	v_lshlrev_b32_e32 v2, 4, v58
	v_add3_u32 v1, v22, v1, v2
	ds_read_b128 v[60:63], v1 offset:14976
	ds_read_b128 v[66:69], v1 offset:17472
	;; [unrolled: 1-line block ×10, first 2 shown]
	ds_read_b128 v[2:5], v1
	ds_read_b128 v[128:131], v1 offset:2496
	ds_read_b128 v[132:135], v1 offset:29952
	s_waitcnt vmcnt(11) lgkmcnt(12)
	v_mul_f64 v[42:43], v[60:61], v[12:13]
	s_waitcnt vmcnt(10) lgkmcnt(11)
	v_mul_f64 v[44:45], v[66:67], v[8:9]
	;; [unrolled: 2-line block ×3, first 2 shown]
	v_mul_f64 v[20:21], v[76:77], v[20:21]
	s_waitcnt vmcnt(7) lgkmcnt(9)
	v_mul_f64 v[52:53], v[88:89], v[26:27]
	v_mul_f64 v[22:23], v[90:91], v[26:27]
	v_fmac_f64_e32 v[48:49], v[76:77], v[18:19]
	v_fmac_f64_e32 v[52:53], v[90:91], v[24:25]
	v_fma_f64 v[76:77], v[88:89], v[24:25], -v[22:23]
	s_waitcnt vmcnt(2) lgkmcnt(3)
	v_mul_f64 v[64:65], v[120:121], v[86:87]
	v_mul_f64 v[40:41], v[122:123], v[86:87]
	s_waitcnt vmcnt(1) lgkmcnt(1)
	v_mul_f64 v[88:89], v[128:129], v[102:103]
	s_waitcnt vmcnt(0) lgkmcnt(0)
	v_mul_f64 v[86:87], v[132:133], v[110:111]
	v_mul_f64 v[24:25], v[130:131], v[102:103]
	;; [unrolled: 1-line block ×10, first 2 shown]
	v_fmac_f64_e32 v[88:89], v[130:131], v[100:101]
	v_fmac_f64_e32 v[86:87], v[134:135], v[108:109]
	v_fma_f64 v[90:91], v[128:129], v[100:101], -v[24:25]
	v_mul_f64 v[24:25], v[134:135], v[110:111]
	v_fmac_f64_e32 v[72:73], v[114:115], v[78:79]
	v_fmac_f64_e32 v[64:65], v[122:123], v[84:85]
	v_fma_f64 v[82:83], v[112:113], v[78:79], -v[38:39]
	v_fma_f64 v[78:79], v[120:121], v[84:85], -v[40:41]
	v_add_f64 v[126:127], v[88:89], v[86:87]
	v_fma_f64 v[84:85], v[132:133], v[108:109], -v[24:25]
	v_mul_f64 v[8:9], v[68:69], v[8:9]
	v_mul_f64 v[46:47], v[92:93], v[16:17]
	v_mul_f64 v[16:17], v[94:95], v[16:17]
	v_fmac_f64_e32 v[44:45], v[68:69], v[6:7]
	v_fma_f64 v[68:69], v[74:75], v[18:19], -v[20:21]
	v_fmac_f64_e32 v[56:57], v[106:107], v[32:33]
	v_fmac_f64_e32 v[54:55], v[118:119], v[36:37]
	v_fma_f64 v[74:75], v[116:117], v[36:37], -v[34:35]
	v_add_f64 v[116:117], v[72:73], v[64:65]
	v_mul_f64 v[22:23], v[126:127], s[28:29]
	v_add_f64 v[100:101], v[90:91], -v[84:85]
	v_mul_f64 v[12:13], v[62:63], v[12:13]
	v_fmac_f64_e32 v[42:43], v[62:63], v[10:11]
	v_fma_f64 v[62:63], v[66:67], v[6:7], -v[8:9]
	v_fma_f64 v[66:67], v[92:93], v[14:15], -v[16:17]
	v_fmac_f64_e32 v[50:51], v[98:99], v[28:29]
	v_fma_f64 v[80:81], v[104:105], v[32:33], -v[30:31]
	v_add_f64 v[114:115], v[56:57], v[54:55]
	v_add_f64 v[98:99], v[82:83], -v[78:79]
	v_mul_f64 v[16:17], v[116:117], s[0:1]
	v_fma_f64 v[24:25], s[38:39], v[100:101], v[22:23]
	v_fmac_f64_e32 v[46:47], v[94:95], v[14:15]
	v_fma_f64 v[70:71], v[96:97], v[28:29], -v[26:27]
	v_add_f64 v[112:113], v[52:53], v[50:51]
	v_add_f64 v[96:97], v[80:81], -v[74:75]
	v_mul_f64 v[14:15], v[114:115], s[18:19]
	v_fma_f64 v[20:21], s[12:13], v[98:99], v[16:17]
	v_add_f64 v[24:25], v[4:5], v[24:25]
	v_fma_f64 v[60:61], v[60:61], v[10:11], -v[12:13]
	v_add_f64 v[106:107], v[48:49], v[46:47]
	v_add_f64 v[94:95], v[76:77], -v[70:71]
	v_mul_f64 v[12:13], v[112:113], s[2:3]
	v_fma_f64 v[18:19], s[48:49], v[96:97], v[14:15]
	v_add_f64 v[20:21], v[20:21], v[24:25]
	v_add_f64 v[136:137], v[88:89], -v[86:87]
	v_fmac_f64_e32 v[22:23], s[36:37], v[100:101]
	v_add_f64 v[92:93], v[68:69], -v[66:67]
	v_mul_f64 v[10:11], v[106:107], s[14:15]
	v_fma_f64 v[8:9], s[16:17], v[94:95], v[12:13]
	v_add_f64 v[18:19], v[18:19], v[20:21]
	v_add_f64 v[130:131], v[72:73], -v[64:65]
	v_add_f64 v[110:111], v[90:91], v[84:85]
	v_mul_f64 v[26:27], v[136:137], s[36:37]
	v_fmac_f64_e32 v[16:17], s[40:41], v[98:99]
	v_add_f64 v[22:23], v[4:5], v[22:23]
	v_fma_f64 v[6:7], s[46:47], v[92:93], v[10:11]
	v_add_f64 v[8:9], v[8:9], v[18:19]
	v_add_f64 v[124:125], v[56:57], -v[54:55]
	v_add_f64 v[108:109], v[82:83], v[78:79]
	v_mul_f64 v[24:25], v[130:131], s[40:41]
	v_fma_f64 v[28:29], s[28:29], v[110:111], v[26:27]
	v_add_f64 v[16:17], v[16:17], v[22:23]
	v_fmac_f64_e32 v[14:15], s[34:35], v[96:97]
	v_add_f64 v[6:7], v[6:7], v[8:9]
	v_add_f64 v[122:123], v[52:53], -v[50:51]
	v_add_f64 v[104:105], v[80:81], v[74:75]
	v_mul_f64 v[20:21], v[124:125], s[34:35]
	v_fma_f64 v[8:9], s[0:1], v[108:109], v[24:25]
	v_add_f64 v[28:29], v[2:3], v[28:29]
	v_add_f64 v[14:15], v[14:15], v[16:17]
	v_fmac_f64_e32 v[12:13], s[42:43], v[94:95]
	v_add_f64 v[102:103], v[76:77], v[70:71]
	v_mul_f64 v[18:19], v[122:123], s[42:43]
	v_add_f64 v[8:9], v[8:9], v[28:29]
	v_fma_f64 v[28:29], s[18:19], v[104:105], v[20:21]
	v_add_f64 v[12:13], v[12:13], v[14:15]
	v_fmac_f64_e32 v[10:11], s[30:31], v[92:93]
	v_fma_f64 v[14:15], v[110:111], s[28:29], -v[26:27]
	v_add_f64 v[8:9], v[28:29], v[8:9]
	v_fma_f64 v[28:29], s[2:3], v[102:103], v[18:19]
	v_add_f64 v[132:133], v[48:49], -v[46:47]
	v_add_f64 v[10:11], v[10:11], v[12:13]
	v_fma_f64 v[12:13], v[108:109], s[0:1], -v[24:25]
	v_add_f64 v[14:15], v[2:3], v[14:15]
	v_add_f64 v[8:9], v[28:29], v[8:9]
	;; [unrolled: 1-line block ×3, first 2 shown]
	v_mul_f64 v[28:29], v[132:133], s[30:31]
	v_add_f64 v[134:135], v[42:43], v[44:45]
	v_add_f64 v[12:13], v[12:13], v[14:15]
	v_fma_f64 v[14:15], v[104:105], s[18:19], -v[20:21]
	v_fma_f64 v[30:31], s[14:15], v[118:119], v[28:29]
	v_mul_f64 v[32:33], v[134:135], s[8:9]
	v_add_f64 v[128:129], v[60:61], -v[62:63]
	v_add_f64 v[138:139], v[42:43], -v[44:45]
	v_add_f64 v[12:13], v[14:15], v[12:13]
	v_fma_f64 v[14:15], v[102:103], s[2:3], -v[18:19]
	v_add_f64 v[30:31], v[30:31], v[8:9]
	v_fma_f64 v[8:9], s[26:27], v[128:129], v[32:33]
	v_add_f64 v[120:121], v[60:61], v[62:63]
	v_mul_f64 v[34:35], v[138:139], s[44:45]
	v_add_f64 v[12:13], v[14:15], v[12:13]
	v_fma_f64 v[14:15], v[118:119], s[14:15], -v[28:29]
	v_fmac_f64_e32 v[32:33], s[44:45], v[128:129]
	v_add_f64 v[14:15], v[14:15], v[12:13]
	v_add_f64 v[12:13], v[32:33], v[10:11]
	v_fma_f64 v[10:11], v[120:121], s[8:9], -v[34:35]
	v_mul_f64 v[18:19], v[126:127], s[18:19]
	v_add_f64 v[10:11], v[10:11], v[14:15]
	v_fma_f64 v[14:15], s[48:49], v[100:101], v[18:19]
	v_mul_f64 v[20:21], v[116:117], s[8:9]
	v_add_f64 v[14:15], v[4:5], v[14:15]
	v_fma_f64 v[16:17], s[26:27], v[98:99], v[20:21]
	v_mul_f64 v[22:23], v[114:115], s[2:3]
	v_add_f64 v[14:15], v[16:17], v[14:15]
	v_fma_f64 v[16:17], s[42:43], v[96:97], v[22:23]
	v_mul_f64 v[24:25], v[112:113], s[28:29]
	v_add_f64 v[14:15], v[16:17], v[14:15]
	v_fma_f64 v[16:17], s[36:37], v[94:95], v[24:25]
	v_mul_f64 v[26:27], v[106:107], s[0:1]
	v_add_f64 v[8:9], v[8:9], v[6:7]
	v_fma_f64 v[6:7], s[8:9], v[120:121], v[34:35]
	v_add_f64 v[14:15], v[16:17], v[14:15]
	v_fma_f64 v[16:17], s[12:13], v[92:93], v[26:27]
	v_mul_f64 v[28:29], v[136:137], s[34:35]
	v_add_f64 v[6:7], v[6:7], v[30:31]
	v_add_f64 v[14:15], v[16:17], v[14:15]
	v_fma_f64 v[16:17], s[18:19], v[110:111], v[28:29]
	v_mul_f64 v[30:31], v[130:131], s[44:45]
	v_add_f64 v[16:17], v[2:3], v[16:17]
	v_fma_f64 v[32:33], s[8:9], v[108:109], v[30:31]
	v_fmac_f64_e32 v[18:19], s[34:35], v[100:101]
	v_add_f64 v[16:17], v[32:33], v[16:17]
	v_mul_f64 v[32:33], v[124:125], s[16:17]
	v_fmac_f64_e32 v[20:21], s[44:45], v[98:99]
	v_add_f64 v[18:19], v[4:5], v[18:19]
	v_fma_f64 v[34:35], s[2:3], v[104:105], v[32:33]
	v_add_f64 v[18:19], v[20:21], v[18:19]
	v_fmac_f64_e32 v[22:23], s[16:17], v[96:97]
	v_add_f64 v[16:17], v[34:35], v[16:17]
	v_mul_f64 v[34:35], v[122:123], s[38:39]
	v_add_f64 v[18:19], v[22:23], v[18:19]
	v_fma_f64 v[22:23], v[110:111], s[18:19], -v[28:29]
	v_fma_f64 v[36:37], s[28:29], v[102:103], v[34:35]
	v_fma_f64 v[20:21], v[108:109], s[8:9], -v[30:31]
	v_add_f64 v[22:23], v[2:3], v[22:23]
	v_add_f64 v[16:17], v[36:37], v[16:17]
	v_mul_f64 v[36:37], v[132:133], s[40:41]
	v_fmac_f64_e32 v[24:25], s[38:39], v[94:95]
	v_add_f64 v[20:21], v[20:21], v[22:23]
	v_fma_f64 v[22:23], v[104:105], s[2:3], -v[32:33]
	v_fma_f64 v[38:39], s[0:1], v[118:119], v[36:37]
	v_mul_f64 v[40:41], v[134:135], s[14:15]
	v_add_f64 v[18:19], v[24:25], v[18:19]
	v_fmac_f64_e32 v[26:27], s[40:41], v[92:93]
	v_add_f64 v[20:21], v[22:23], v[20:21]
	v_fma_f64 v[22:23], v[102:103], s[28:29], -v[34:35]
	v_add_f64 v[38:39], v[38:39], v[16:17]
	v_fma_f64 v[16:17], s[46:47], v[128:129], v[40:41]
	v_mul_f64 v[140:141], v[138:139], s[30:31]
	v_add_f64 v[18:19], v[26:27], v[18:19]
	v_add_f64 v[20:21], v[22:23], v[20:21]
	v_fma_f64 v[22:23], v[118:119], s[0:1], -v[36:37]
	v_fmac_f64_e32 v[40:41], s[30:31], v[128:129]
	v_add_f64 v[22:23], v[22:23], v[20:21]
	v_add_f64 v[20:21], v[40:41], v[18:19]
	v_fma_f64 v[18:19], v[120:121], s[14:15], -v[140:141]
	v_mul_f64 v[26:27], v[126:127], s[14:15]
	v_add_f64 v[18:19], v[18:19], v[22:23]
	v_fma_f64 v[22:23], s[46:47], v[100:101], v[26:27]
	v_mul_f64 v[28:29], v[116:117], s[18:19]
	v_add_f64 v[22:23], v[4:5], v[22:23]
	v_fma_f64 v[24:25], s[34:35], v[98:99], v[28:29]
	v_mul_f64 v[30:31], v[114:115], s[0:1]
	v_add_f64 v[22:23], v[24:25], v[22:23]
	v_fma_f64 v[24:25], s[12:13], v[96:97], v[30:31]
	v_mul_f64 v[32:33], v[112:113], s[8:9]
	v_add_f64 v[22:23], v[24:25], v[22:23]
	v_fma_f64 v[24:25], s[44:45], v[94:95], v[32:33]
	v_mul_f64 v[34:35], v[106:107], s[28:29]
	v_add_f64 v[16:17], v[16:17], v[14:15]
	v_fma_f64 v[14:15], s[14:15], v[120:121], v[140:141]
	v_add_f64 v[22:23], v[24:25], v[22:23]
	v_fma_f64 v[24:25], s[36:37], v[92:93], v[34:35]
	v_mul_f64 v[36:37], v[136:137], s[30:31]
	v_add_f64 v[14:15], v[14:15], v[38:39]
	v_add_f64 v[22:23], v[24:25], v[22:23]
	v_fma_f64 v[24:25], s[14:15], v[110:111], v[36:37]
	v_mul_f64 v[38:39], v[130:131], s[48:49]
	v_add_f64 v[24:25], v[2:3], v[24:25]
	v_fma_f64 v[40:41], s[18:19], v[108:109], v[38:39]
	v_fmac_f64_e32 v[26:27], s[30:31], v[100:101]
	v_add_f64 v[24:25], v[40:41], v[24:25]
	v_mul_f64 v[40:41], v[124:125], s[40:41]
	v_fmac_f64_e32 v[28:29], s[48:49], v[98:99]
	v_add_f64 v[26:27], v[4:5], v[26:27]
	v_fma_f64 v[140:141], s[0:1], v[104:105], v[40:41]
	v_add_f64 v[26:27], v[28:29], v[26:27]
	v_fmac_f64_e32 v[30:31], s[40:41], v[96:97]
	v_add_f64 v[24:25], v[140:141], v[24:25]
	v_mul_f64 v[140:141], v[122:123], s[26:27]
	v_add_f64 v[26:27], v[30:31], v[26:27]
	v_fma_f64 v[30:31], v[110:111], s[14:15], -v[36:37]
	v_fma_f64 v[142:143], s[8:9], v[102:103], v[140:141]
	v_fma_f64 v[28:29], v[108:109], s[18:19], -v[38:39]
	v_add_f64 v[30:31], v[2:3], v[30:31]
	v_add_f64 v[24:25], v[142:143], v[24:25]
	v_mul_f64 v[142:143], v[132:133], s[38:39]
	v_fmac_f64_e32 v[32:33], s[26:27], v[94:95]
	v_add_f64 v[28:29], v[28:29], v[30:31]
	v_fma_f64 v[30:31], v[104:105], s[0:1], -v[40:41]
	v_fma_f64 v[144:145], s[28:29], v[118:119], v[142:143]
	v_mul_f64 v[146:147], v[134:135], s[2:3]
	v_add_f64 v[26:27], v[32:33], v[26:27]
	v_fmac_f64_e32 v[34:35], s[38:39], v[92:93]
	v_add_f64 v[28:29], v[30:31], v[28:29]
	v_fma_f64 v[30:31], v[102:103], s[8:9], -v[140:141]
	v_add_f64 v[144:145], v[144:145], v[24:25]
	v_fma_f64 v[24:25], s[16:17], v[128:129], v[146:147]
	v_mul_f64 v[148:149], v[138:139], s[42:43]
	v_add_f64 v[26:27], v[34:35], v[26:27]
	;; [unrolled: 60-line block ×4, first 2 shown]
	v_add_f64 v[142:143], v[144:145], v[142:143]
	v_fma_f64 v[144:145], v[118:119], s[8:9], -v[158:159]
	v_fmac_f64_e32 v[162:163], s[40:41], v[128:129]
	v_add_f64 v[144:145], v[144:145], v[142:143]
	v_add_f64 v[142:143], v[162:163], v[140:141]
	v_fma_f64 v[140:141], v[120:121], s[0:1], -v[164:165]
	v_mul_f64 v[126:127], v[126:127], s[0:1]
	v_add_f64 v[140:141], v[140:141], v[144:145]
	v_mul_f64 v[116:117], v[116:117], s[2:3]
	v_fma_f64 v[144:145], s[40:41], v[100:101], v[126:127]
	v_add_f64 v[144:145], v[4:5], v[144:145]
	v_fma_f64 v[146:147], s[42:43], v[98:99], v[116:117]
	v_add_f64 v[144:145], v[146:147], v[144:145]
	v_mul_f64 v[146:147], v[114:115], s[8:9]
	v_fma_f64 v[114:115], s[44:45], v[96:97], v[146:147]
	v_add_f64 v[114:115], v[114:115], v[144:145]
	v_mul_f64 v[144:145], v[112:113], s[14:15]
	v_fma_f64 v[112:113], s[46:47], v[94:95], v[144:145]
	v_mul_f64 v[106:107], v[106:107], s[18:19]
	v_fmac_f64_e32 v[126:127], s[12:13], v[100:101]
	v_add_f64 v[112:113], v[112:113], v[114:115]
	v_fma_f64 v[114:115], s[48:49], v[92:93], v[106:107]
	v_fmac_f64_e32 v[106:107], s[34:35], v[92:93]
	v_add_f64 v[92:93], v[4:5], v[126:127]
	v_add_f64 v[4:5], v[4:5], v[88:89]
	v_mul_f64 v[136:137], v[136:137], s[12:13]
	v_add_f64 v[4:5], v[4:5], v[72:73]
	v_add_f64 v[112:113], v[114:115], v[112:113]
	v_mul_f64 v[130:131], v[130:131], s[16:17]
	v_fma_f64 v[114:115], s[0:1], v[110:111], v[136:137]
	v_add_f64 v[4:5], v[4:5], v[56:57]
	v_add_f64 v[114:115], v[2:3], v[114:115]
	v_fma_f64 v[148:149], s[2:3], v[108:109], v[130:131]
	v_mul_f64 v[124:125], v[124:125], s[26:27]
	v_add_f64 v[4:5], v[4:5], v[52:53]
	v_add_f64 v[114:115], v[148:149], v[114:115]
	v_fma_f64 v[148:149], s[8:9], v[104:105], v[124:125]
	v_mul_f64 v[122:123], v[122:123], s[30:31]
	v_fmac_f64_e32 v[116:117], s[16:17], v[98:99]
	v_add_f64 v[4:5], v[4:5], v[48:49]
	v_add_f64 v[114:115], v[148:149], v[114:115]
	v_fma_f64 v[148:149], s[14:15], v[102:103], v[122:123]
	v_fmac_f64_e32 v[146:147], s[26:27], v[96:97]
	v_add_f64 v[92:93], v[116:117], v[92:93]
	v_fma_f64 v[100:101], v[102:103], s[14:15], -v[122:123]
	v_fma_f64 v[102:103], v[104:105], s[8:9], -v[124:125]
	;; [unrolled: 1-line block ×3, first 2 shown]
	v_add_f64 v[4:5], v[4:5], v[42:43]
	v_mad_u64_u32 v[42:43], s[2:3], s6, v58, 0
	v_mul_f64 v[132:133], v[132:133], s[34:35]
	v_fmac_f64_e32 v[144:145], s[30:31], v[94:95]
	v_add_f64 v[92:93], v[146:147], v[92:93]
	v_add_f64 v[4:5], v[4:5], v[44:45]
	v_mov_b32_e32 v44, v43
	v_add_f64 v[114:115], v[148:149], v[114:115]
	v_fma_f64 v[148:149], s[18:19], v[118:119], v[132:133]
	v_mul_f64 v[134:135], v[134:135], s[28:29]
	v_add_f64 v[92:93], v[144:145], v[92:93]
	v_mad_u64_u32 v[44:45], s[2:3], s7, v58, v[44:45]
	v_add_f64 v[148:149], v[148:149], v[114:115]
	v_fma_f64 v[114:115], s[38:39], v[128:129], v[134:135]
	v_fmac_f64_e32 v[134:135], s[36:37], v[128:129]
	v_add_f64 v[92:93], v[106:107], v[92:93]
	v_fma_f64 v[106:107], v[110:111], s[0:1], -v[136:137]
	s_movk_i32 s2, 0x1a5
	v_add_f64 v[94:95], v[134:135], v[92:93]
	v_add_f64 v[92:93], v[2:3], v[106:107]
	;; [unrolled: 1-line block ×3, first 2 shown]
	v_mul_u32_u24_sdwa v0, v0, s2 dst_sel:DWORD dst_unused:UNUSED_PAD src0_sel:WORD_0 src1_sel:DWORD
	s_movk_i32 s2, 0xa9
	v_add_f64 v[2:3], v[2:3], v[82:83]
	v_mul_lo_u16_sdwa v0, v0, s2 dst_sel:DWORD dst_unused:UNUSED_PAD src0_sel:WORD_1 src1_sel:DWORD
	v_add_f64 v[4:5], v[4:5], v[46:47]
	v_add_f64 v[2:3], v[2:3], v[80:81]
	v_add_u32_sdwa v46, v59, v0 dst_sel:DWORD dst_unused:UNUSED_PAD src0_sel:BYTE_0 src1_sel:DWORD
	v_add_f64 v[36:37], v[36:37], v[34:35]
	v_fma_f64 v[34:35], s[0:1], v[120:121], v[164:165]
	s_mul_i32 s0, s53, s22
	s_mul_hi_u32 s1, s52, s22
	v_add_f64 v[2:3], v[2:3], v[76:77]
	v_mad_u64_u32 v[0:1], s[2:3], s4, v46, 0
	s_add_i32 s1, s1, s0
	s_mul_i32 s0, s52, s22
	v_add_f64 v[2:3], v[2:3], v[68:69]
	v_mov_b32_e32 v43, v44
	v_mov_b32_e32 v44, v1
	v_add_f64 v[2:3], v[2:3], v[60:61]
	v_mad_u64_u32 v[44:45], s[2:3], s5, v46, v[44:45]
	s_lshl_b64 s[0:1], s[0:1], 4
	v_add_f64 v[2:3], v[2:3], v[62:63]
	s_add_u32 s2, s10, s0
	v_add_f64 v[2:3], v[2:3], v[66:67]
	s_addc_u32 s3, s11, s1
	s_lshl_b64 s[0:1], s[20:21], 4
	v_add_f64 v[4:5], v[4:5], v[50:51]
	v_add_f64 v[2:3], v[2:3], v[70:71]
	s_add_u32 s0, s2, s0
	v_add_f64 v[4:5], v[4:5], v[54:55]
	v_add_f64 v[2:3], v[2:3], v[74:75]
	s_addc_u32 s1, s3, s1
	v_add_f64 v[4:5], v[4:5], v[64:65]
	v_add_f64 v[2:3], v[2:3], v[78:79]
	v_mov_b32_e32 v1, v44
	v_lshl_add_u64 v[42:43], v[42:43], 4, s[0:1]
	v_add_f64 v[4:5], v[4:5], v[86:87]
	v_add_f64 v[2:3], v[2:3], v[84:85]
	v_lshl_add_u64 v[0:1], v[0:1], 4, v[42:43]
	global_store_dwordx4 v[0:1], v[2:5], off
	v_add_f64 v[92:93], v[104:105], v[92:93]
	v_add_f64 v[92:93], v[102:103], v[92:93]
	v_add_u32_e32 v3, 13, v46
	v_mad_u64_u32 v[0:1], s[0:1], s4, v3, 0
	v_mov_b32_e32 v2, v1
	v_mul_f64 v[138:139], v[138:139], s[36:37]
	v_fma_f64 v[98:99], v[118:119], s[18:19], -v[132:133]
	v_add_f64 v[92:93], v[100:101], v[92:93]
	v_mad_u64_u32 v[2:3], s[0:1], s5, v3, v[2:3]
	v_fma_f64 v[96:97], v[120:121], s[28:29], -v[138:139]
	v_add_f64 v[92:93], v[98:99], v[92:93]
	v_mov_b32_e32 v1, v2
	v_add_f64 v[92:93], v[96:97], v[92:93]
	v_lshl_add_u64 v[0:1], v[0:1], 4, v[42:43]
	v_add_u32_e32 v3, 26, v46
	global_store_dwordx4 v[0:1], v[92:95], off
	v_mad_u64_u32 v[0:1], s[0:1], s4, v3, 0
	v_mov_b32_e32 v2, v1
	v_mad_u64_u32 v[2:3], s[0:1], s5, v3, v[2:3]
	v_mov_b32_e32 v1, v2
	v_lshl_add_u64 v[0:1], v[0:1], 4, v[42:43]
	v_add_u32_e32 v3, 39, v46
	global_store_dwordx4 v[0:1], v[140:143], off
	v_mad_u64_u32 v[0:1], s[0:1], s4, v3, 0
	v_mov_b32_e32 v2, v1
	v_mad_u64_u32 v[2:3], s[0:1], s5, v3, v[2:3]
	v_mov_b32_e32 v1, v2
	;; [unrolled: 7-line block ×10, first 2 shown]
	v_add_f64 v[34:35], v[34:35], v[160:161]
	v_lshl_add_u64 v[0:1], v[0:1], 4, v[42:43]
	v_add_u32_e32 v3, 0x9c, v46
	global_store_dwordx4 v[0:1], v[34:37], off
	v_mad_u64_u32 v[0:1], s[0:1], s4, v3, 0
	v_mov_b32_e32 v2, v1
	v_mad_u64_u32 v[2:3], s[0:1], s5, v3, v[2:3]
	v_add_f64 v[114:115], v[114:115], v[112:113]
	v_fma_f64 v[112:113], s[28:29], v[120:121], v[138:139]
	v_mov_b32_e32 v1, v2
	v_add_f64 v[112:113], v[112:113], v[148:149]
	v_lshl_add_u64 v[0:1], v[0:1], 4, v[42:43]
	global_store_dwordx4 v[0:1], v[112:115], off
.LBB0_40:
	s_endpgm
	.section	.rodata,"a",@progbits
	.p2align	6, 0x0
	.amdhsa_kernel fft_rtc_fwd_len169_factors_13_13_wgs_156_tpt_13_dp_op_CI_CI_sbcc_dirReg_intrinsicRead
		.amdhsa_group_segment_fixed_size 0
		.amdhsa_private_segment_fixed_size 0
		.amdhsa_kernarg_size 112
		.amdhsa_user_sgpr_count 2
		.amdhsa_user_sgpr_dispatch_ptr 0
		.amdhsa_user_sgpr_queue_ptr 0
		.amdhsa_user_sgpr_kernarg_segment_ptr 1
		.amdhsa_user_sgpr_dispatch_id 0
		.amdhsa_user_sgpr_kernarg_preload_length 0
		.amdhsa_user_sgpr_kernarg_preload_offset 0
		.amdhsa_user_sgpr_private_segment_size 0
		.amdhsa_uses_dynamic_stack 0
		.amdhsa_enable_private_segment 0
		.amdhsa_system_sgpr_workgroup_id_x 1
		.amdhsa_system_sgpr_workgroup_id_y 0
		.amdhsa_system_sgpr_workgroup_id_z 0
		.amdhsa_system_sgpr_workgroup_info 0
		.amdhsa_system_vgpr_workitem_id 0
		.amdhsa_next_free_vgpr 166
		.amdhsa_next_free_sgpr 56
		.amdhsa_accum_offset 168
		.amdhsa_reserve_vcc 1
		.amdhsa_float_round_mode_32 0
		.amdhsa_float_round_mode_16_64 0
		.amdhsa_float_denorm_mode_32 3
		.amdhsa_float_denorm_mode_16_64 3
		.amdhsa_dx10_clamp 1
		.amdhsa_ieee_mode 1
		.amdhsa_fp16_overflow 0
		.amdhsa_tg_split 0
		.amdhsa_exception_fp_ieee_invalid_op 0
		.amdhsa_exception_fp_denorm_src 0
		.amdhsa_exception_fp_ieee_div_zero 0
		.amdhsa_exception_fp_ieee_overflow 0
		.amdhsa_exception_fp_ieee_underflow 0
		.amdhsa_exception_fp_ieee_inexact 0
		.amdhsa_exception_int_div_zero 0
	.end_amdhsa_kernel
	.text
.Lfunc_end0:
	.size	fft_rtc_fwd_len169_factors_13_13_wgs_156_tpt_13_dp_op_CI_CI_sbcc_dirReg_intrinsicRead, .Lfunc_end0-fft_rtc_fwd_len169_factors_13_13_wgs_156_tpt_13_dp_op_CI_CI_sbcc_dirReg_intrinsicRead
                                        ; -- End function
	.section	.AMDGPU.csdata,"",@progbits
; Kernel info:
; codeLenInByte = 10472
; NumSgprs: 62
; NumVgprs: 166
; NumAgprs: 0
; TotalNumVgprs: 166
; ScratchSize: 0
; MemoryBound: 0
; FloatMode: 240
; IeeeMode: 1
; LDSByteSize: 0 bytes/workgroup (compile time only)
; SGPRBlocks: 7
; VGPRBlocks: 20
; NumSGPRsForWavesPerEU: 62
; NumVGPRsForWavesPerEU: 166
; AccumOffset: 168
; Occupancy: 3
; WaveLimiterHint : 1
; COMPUTE_PGM_RSRC2:SCRATCH_EN: 0
; COMPUTE_PGM_RSRC2:USER_SGPR: 2
; COMPUTE_PGM_RSRC2:TRAP_HANDLER: 0
; COMPUTE_PGM_RSRC2:TGID_X_EN: 1
; COMPUTE_PGM_RSRC2:TGID_Y_EN: 0
; COMPUTE_PGM_RSRC2:TGID_Z_EN: 0
; COMPUTE_PGM_RSRC2:TIDIG_COMP_CNT: 0
; COMPUTE_PGM_RSRC3_GFX90A:ACCUM_OFFSET: 41
; COMPUTE_PGM_RSRC3_GFX90A:TG_SPLIT: 0
	.text
	.p2alignl 6, 3212836864
	.fill 256, 4, 3212836864
	.type	__hip_cuid_8f4aee714c2a346a,@object ; @__hip_cuid_8f4aee714c2a346a
	.section	.bss,"aw",@nobits
	.globl	__hip_cuid_8f4aee714c2a346a
__hip_cuid_8f4aee714c2a346a:
	.byte	0                               ; 0x0
	.size	__hip_cuid_8f4aee714c2a346a, 1

	.ident	"AMD clang version 19.0.0git (https://github.com/RadeonOpenCompute/llvm-project roc-6.4.0 25133 c7fe45cf4b819c5991fe208aaa96edf142730f1d)"
	.section	".note.GNU-stack","",@progbits
	.addrsig
	.addrsig_sym __hip_cuid_8f4aee714c2a346a
	.amdgpu_metadata
---
amdhsa.kernels:
  - .agpr_count:     0
    .args:
      - .actual_access:  read_only
        .address_space:  global
        .offset:         0
        .size:           8
        .value_kind:     global_buffer
      - .address_space:  global
        .offset:         8
        .size:           8
        .value_kind:     global_buffer
      - .offset:         16
        .size:           8
        .value_kind:     by_value
      - .actual_access:  read_only
        .address_space:  global
        .offset:         24
        .size:           8
        .value_kind:     global_buffer
      - .actual_access:  read_only
        .address_space:  global
        .offset:         32
        .size:           8
        .value_kind:     global_buffer
      - .actual_access:  read_only
        .address_space:  global
        .offset:         40
        .size:           8
        .value_kind:     global_buffer
      - .offset:         48
        .size:           8
        .value_kind:     by_value
      - .actual_access:  read_only
        .address_space:  global
        .offset:         56
        .size:           8
        .value_kind:     global_buffer
      - .actual_access:  read_only
        .address_space:  global
        .offset:         64
        .size:           8
        .value_kind:     global_buffer
      - .offset:         72
        .size:           4
        .value_kind:     by_value
      - .actual_access:  read_only
        .address_space:  global
        .offset:         80
        .size:           8
        .value_kind:     global_buffer
      - .actual_access:  read_only
        .address_space:  global
        .offset:         88
        .size:           8
        .value_kind:     global_buffer
      - .actual_access:  read_only
        .address_space:  global
        .offset:         96
        .size:           8
        .value_kind:     global_buffer
      - .actual_access:  write_only
        .address_space:  global
        .offset:         104
        .size:           8
        .value_kind:     global_buffer
    .group_segment_fixed_size: 0
    .kernarg_segment_align: 8
    .kernarg_segment_size: 112
    .language:       OpenCL C
    .language_version:
      - 2
      - 0
    .max_flat_workgroup_size: 156
    .name:           fft_rtc_fwd_len169_factors_13_13_wgs_156_tpt_13_dp_op_CI_CI_sbcc_dirReg_intrinsicRead
    .private_segment_fixed_size: 0
    .sgpr_count:     62
    .sgpr_spill_count: 0
    .symbol:         fft_rtc_fwd_len169_factors_13_13_wgs_156_tpt_13_dp_op_CI_CI_sbcc_dirReg_intrinsicRead.kd
    .uniform_work_group_size: 1
    .uses_dynamic_stack: false
    .vgpr_count:     166
    .vgpr_spill_count: 0
    .wavefront_size: 64
amdhsa.target:   amdgcn-amd-amdhsa--gfx950
amdhsa.version:
  - 1
  - 2
...

	.end_amdgpu_metadata
